;; amdgpu-corpus repo=ROCm/rocFFT kind=compiled arch=gfx1030 opt=O3
	.text
	.amdgcn_target "amdgcn-amd-amdhsa--gfx1030"
	.amdhsa_code_object_version 6
	.protected	fft_rtc_fwd_len1936_factors_2_2_4_11_11_wgs_176_tpt_176_dp_op_CI_CI_unitstride_sbrr_dirReg ; -- Begin function fft_rtc_fwd_len1936_factors_2_2_4_11_11_wgs_176_tpt_176_dp_op_CI_CI_unitstride_sbrr_dirReg
	.globl	fft_rtc_fwd_len1936_factors_2_2_4_11_11_wgs_176_tpt_176_dp_op_CI_CI_unitstride_sbrr_dirReg
	.p2align	8
	.type	fft_rtc_fwd_len1936_factors_2_2_4_11_11_wgs_176_tpt_176_dp_op_CI_CI_unitstride_sbrr_dirReg,@function
fft_rtc_fwd_len1936_factors_2_2_4_11_11_wgs_176_tpt_176_dp_op_CI_CI_unitstride_sbrr_dirReg: ; @fft_rtc_fwd_len1936_factors_2_2_4_11_11_wgs_176_tpt_176_dp_op_CI_CI_unitstride_sbrr_dirReg
; %bb.0:
	s_clause 0x2
	s_load_dwordx4 s[12:15], s[4:5], 0x0
	s_load_dwordx4 s[8:11], s[4:5], 0x58
	;; [unrolled: 1-line block ×3, first 2 shown]
	v_mul_u32_u24_e32 v2, 0x175, v0
	v_mov_b32_e32 v1, 0
	v_mov_b32_e32 v4, 0
	;; [unrolled: 1-line block ×3, first 2 shown]
	v_add_nc_u32_sdwa v6, s6, v2 dst_sel:DWORD dst_unused:UNUSED_PAD src0_sel:DWORD src1_sel:WORD_1
	v_mov_b32_e32 v7, v1
	s_waitcnt lgkmcnt(0)
	v_cmp_lt_u64_e64 s0, s[14:15], 2
	s_and_b32 vcc_lo, exec_lo, s0
	s_cbranch_vccnz .LBB0_8
; %bb.1:
	s_load_dwordx2 s[0:1], s[4:5], 0x10
	v_mov_b32_e32 v4, 0
	v_mov_b32_e32 v5, 0
	s_add_u32 s2, s18, 8
	s_addc_u32 s3, s19, 0
	s_add_u32 s6, s16, 8
	s_addc_u32 s7, s17, 0
	v_mov_b32_e32 v85, v5
	v_mov_b32_e32 v84, v4
	s_mov_b64 s[22:23], 1
	s_waitcnt lgkmcnt(0)
	s_add_u32 s20, s0, 8
	s_addc_u32 s21, s1, 0
.LBB0_2:                                ; =>This Inner Loop Header: Depth=1
	s_load_dwordx2 s[24:25], s[20:21], 0x0
                                        ; implicit-def: $vgpr87_vgpr88
	s_mov_b32 s0, exec_lo
	s_waitcnt lgkmcnt(0)
	v_or_b32_e32 v2, s25, v7
	v_cmpx_ne_u64_e32 0, v[1:2]
	s_xor_b32 s1, exec_lo, s0
	s_cbranch_execz .LBB0_4
; %bb.3:                                ;   in Loop: Header=BB0_2 Depth=1
	v_cvt_f32_u32_e32 v2, s24
	v_cvt_f32_u32_e32 v3, s25
	s_sub_u32 s0, 0, s24
	s_subb_u32 s26, 0, s25
	v_fmac_f32_e32 v2, 0x4f800000, v3
	v_rcp_f32_e32 v2, v2
	v_mul_f32_e32 v2, 0x5f7ffffc, v2
	v_mul_f32_e32 v3, 0x2f800000, v2
	v_trunc_f32_e32 v3, v3
	v_fmac_f32_e32 v2, 0xcf800000, v3
	v_cvt_u32_f32_e32 v3, v3
	v_cvt_u32_f32_e32 v2, v2
	v_mul_lo_u32 v8, s0, v3
	v_mul_hi_u32 v9, s0, v2
	v_mul_lo_u32 v10, s26, v2
	v_add_nc_u32_e32 v8, v9, v8
	v_mul_lo_u32 v9, s0, v2
	v_add_nc_u32_e32 v8, v8, v10
	v_mul_hi_u32 v10, v2, v9
	v_mul_lo_u32 v11, v2, v8
	v_mul_hi_u32 v12, v2, v8
	v_mul_hi_u32 v13, v3, v9
	v_mul_lo_u32 v9, v3, v9
	v_mul_hi_u32 v14, v3, v8
	v_mul_lo_u32 v8, v3, v8
	v_add_co_u32 v10, vcc_lo, v10, v11
	v_add_co_ci_u32_e32 v11, vcc_lo, 0, v12, vcc_lo
	v_add_co_u32 v9, vcc_lo, v10, v9
	v_add_co_ci_u32_e32 v9, vcc_lo, v11, v13, vcc_lo
	v_add_co_ci_u32_e32 v10, vcc_lo, 0, v14, vcc_lo
	v_add_co_u32 v8, vcc_lo, v9, v8
	v_add_co_ci_u32_e32 v9, vcc_lo, 0, v10, vcc_lo
	v_add_co_u32 v2, vcc_lo, v2, v8
	v_add_co_ci_u32_e32 v3, vcc_lo, v3, v9, vcc_lo
	v_mul_hi_u32 v8, s0, v2
	v_mul_lo_u32 v10, s26, v2
	v_mul_lo_u32 v9, s0, v3
	v_add_nc_u32_e32 v8, v8, v9
	v_mul_lo_u32 v9, s0, v2
	v_add_nc_u32_e32 v8, v8, v10
	v_mul_hi_u32 v10, v2, v9
	v_mul_lo_u32 v11, v2, v8
	v_mul_hi_u32 v12, v2, v8
	v_mul_hi_u32 v13, v3, v9
	v_mul_lo_u32 v9, v3, v9
	v_mul_hi_u32 v14, v3, v8
	v_mul_lo_u32 v8, v3, v8
	v_add_co_u32 v10, vcc_lo, v10, v11
	v_add_co_ci_u32_e32 v11, vcc_lo, 0, v12, vcc_lo
	v_add_co_u32 v9, vcc_lo, v10, v9
	v_add_co_ci_u32_e32 v9, vcc_lo, v11, v13, vcc_lo
	v_add_co_ci_u32_e32 v10, vcc_lo, 0, v14, vcc_lo
	v_add_co_u32 v8, vcc_lo, v9, v8
	v_add_co_ci_u32_e32 v9, vcc_lo, 0, v10, vcc_lo
	v_add_co_u32 v8, vcc_lo, v2, v8
	v_add_co_ci_u32_e32 v10, vcc_lo, v3, v9, vcc_lo
	v_mul_hi_u32 v12, v6, v8
	v_mad_u64_u32 v[8:9], null, v7, v8, 0
	v_mad_u64_u32 v[2:3], null, v6, v10, 0
	;; [unrolled: 1-line block ×3, first 2 shown]
	v_add_co_u32 v2, vcc_lo, v12, v2
	v_add_co_ci_u32_e32 v3, vcc_lo, 0, v3, vcc_lo
	v_add_co_u32 v2, vcc_lo, v2, v8
	v_add_co_ci_u32_e32 v2, vcc_lo, v3, v9, vcc_lo
	v_add_co_ci_u32_e32 v3, vcc_lo, 0, v11, vcc_lo
	v_add_co_u32 v8, vcc_lo, v2, v10
	v_add_co_ci_u32_e32 v9, vcc_lo, 0, v3, vcc_lo
	v_mul_lo_u32 v10, s25, v8
	v_mad_u64_u32 v[2:3], null, s24, v8, 0
	v_mul_lo_u32 v11, s24, v9
	v_sub_co_u32 v2, vcc_lo, v6, v2
	v_add3_u32 v3, v3, v11, v10
	v_sub_nc_u32_e32 v10, v7, v3
	v_subrev_co_ci_u32_e64 v10, s0, s25, v10, vcc_lo
	v_add_co_u32 v11, s0, v8, 2
	v_add_co_ci_u32_e64 v12, s0, 0, v9, s0
	v_sub_co_u32 v13, s0, v2, s24
	v_sub_co_ci_u32_e32 v3, vcc_lo, v7, v3, vcc_lo
	v_subrev_co_ci_u32_e64 v10, s0, 0, v10, s0
	v_cmp_le_u32_e32 vcc_lo, s24, v13
	v_cmp_eq_u32_e64 s0, s25, v3
	v_cndmask_b32_e64 v13, 0, -1, vcc_lo
	v_cmp_le_u32_e32 vcc_lo, s25, v10
	v_cndmask_b32_e64 v14, 0, -1, vcc_lo
	v_cmp_le_u32_e32 vcc_lo, s24, v2
	;; [unrolled: 2-line block ×3, first 2 shown]
	v_cndmask_b32_e64 v15, 0, -1, vcc_lo
	v_cmp_eq_u32_e32 vcc_lo, s25, v10
	v_cndmask_b32_e64 v2, v15, v2, s0
	v_cndmask_b32_e32 v10, v14, v13, vcc_lo
	v_add_co_u32 v13, vcc_lo, v8, 1
	v_add_co_ci_u32_e32 v14, vcc_lo, 0, v9, vcc_lo
	v_cmp_ne_u32_e32 vcc_lo, 0, v10
	v_cndmask_b32_e32 v3, v14, v12, vcc_lo
	v_cndmask_b32_e32 v10, v13, v11, vcc_lo
	v_cmp_ne_u32_e32 vcc_lo, 0, v2
	v_cndmask_b32_e32 v88, v9, v3, vcc_lo
	v_cndmask_b32_e32 v87, v8, v10, vcc_lo
.LBB0_4:                                ;   in Loop: Header=BB0_2 Depth=1
	s_andn2_saveexec_b32 s0, s1
	s_cbranch_execz .LBB0_6
; %bb.5:                                ;   in Loop: Header=BB0_2 Depth=1
	v_cvt_f32_u32_e32 v2, s24
	s_sub_i32 s1, 0, s24
	v_mov_b32_e32 v88, v1
	v_rcp_iflag_f32_e32 v2, v2
	v_mul_f32_e32 v2, 0x4f7ffffe, v2
	v_cvt_u32_f32_e32 v2, v2
	v_mul_lo_u32 v3, s1, v2
	v_mul_hi_u32 v3, v2, v3
	v_add_nc_u32_e32 v2, v2, v3
	v_mul_hi_u32 v2, v6, v2
	v_mul_lo_u32 v3, v2, s24
	v_add_nc_u32_e32 v8, 1, v2
	v_sub_nc_u32_e32 v3, v6, v3
	v_subrev_nc_u32_e32 v9, s24, v3
	v_cmp_le_u32_e32 vcc_lo, s24, v3
	v_cndmask_b32_e32 v3, v3, v9, vcc_lo
	v_cndmask_b32_e32 v2, v2, v8, vcc_lo
	v_cmp_le_u32_e32 vcc_lo, s24, v3
	v_add_nc_u32_e32 v8, 1, v2
	v_cndmask_b32_e32 v87, v2, v8, vcc_lo
.LBB0_6:                                ;   in Loop: Header=BB0_2 Depth=1
	s_or_b32 exec_lo, exec_lo, s0
	v_mul_lo_u32 v8, v88, s24
	v_mul_lo_u32 v9, v87, s25
	s_load_dwordx2 s[0:1], s[6:7], 0x0
	v_mad_u64_u32 v[2:3], null, v87, s24, 0
	s_load_dwordx2 s[24:25], s[2:3], 0x0
	s_add_u32 s22, s22, 1
	s_addc_u32 s23, s23, 0
	s_add_u32 s2, s2, 8
	s_addc_u32 s3, s3, 0
	s_add_u32 s6, s6, 8
	v_add3_u32 v3, v3, v9, v8
	v_sub_co_u32 v2, vcc_lo, v6, v2
	s_addc_u32 s7, s7, 0
	s_add_u32 s20, s20, 8
	v_sub_co_ci_u32_e32 v3, vcc_lo, v7, v3, vcc_lo
	s_addc_u32 s21, s21, 0
	s_waitcnt lgkmcnt(0)
	v_mul_lo_u32 v6, s0, v3
	v_mul_lo_u32 v7, s1, v2
	v_mad_u64_u32 v[4:5], null, s0, v2, v[4:5]
	v_mul_lo_u32 v3, s24, v3
	v_mul_lo_u32 v8, s25, v2
	v_mad_u64_u32 v[84:85], null, s24, v2, v[84:85]
	v_cmp_ge_u64_e64 s0, s[22:23], s[14:15]
	v_add3_u32 v5, v7, v5, v6
	v_add3_u32 v85, v8, v85, v3
	s_and_b32 vcc_lo, exec_lo, s0
	s_cbranch_vccnz .LBB0_9
; %bb.7:                                ;   in Loop: Header=BB0_2 Depth=1
	v_mov_b32_e32 v6, v87
	v_mov_b32_e32 v7, v88
	s_branch .LBB0_2
.LBB0_8:
	v_mov_b32_e32 v85, v5
	v_mov_b32_e32 v88, v7
	;; [unrolled: 1-line block ×4, first 2 shown]
.LBB0_9:
	s_load_dwordx2 s[0:1], s[4:5], 0x28
	v_mul_hi_u32 v1, 0x1745d18, v0
	s_lshl_b64 s[4:5], s[14:15], 3
                                        ; implicit-def: $sgpr6
                                        ; implicit-def: $vgpr90
	s_add_u32 s2, s18, s4
	s_addc_u32 s3, s19, s5
	s_waitcnt lgkmcnt(0)
	v_cmp_gt_u64_e32 vcc_lo, s[0:1], v[87:88]
	v_cmp_le_u64_e64 s0, s[0:1], v[87:88]
	s_and_saveexec_b32 s1, s0
	s_xor_b32 s0, exec_lo, s1
; %bb.10:
	v_mul_u32_u24_e32 v1, 0xb0, v1
	s_mov_b32 s6, 0
                                        ; implicit-def: $vgpr4_vgpr5
	v_sub_nc_u32_e32 v90, v0, v1
                                        ; implicit-def: $vgpr1
                                        ; implicit-def: $vgpr0
; %bb.11:
	s_or_saveexec_b32 s1, s0
	s_load_dwordx2 s[2:3], s[2:3], 0x0
	v_mov_b32_e32 v86, s6
                                        ; implicit-def: $vgpr42_vgpr43
                                        ; implicit-def: $vgpr6_vgpr7
                                        ; implicit-def: $vgpr34_vgpr35
                                        ; implicit-def: $vgpr14_vgpr15
                                        ; implicit-def: $vgpr2_vgpr3
                                        ; implicit-def: $vgpr26_vgpr27
                                        ; implicit-def: $vgpr38_vgpr39
                                        ; implicit-def: $vgpr18_vgpr19
                                        ; implicit-def: $vgpr30_vgpr31
                                        ; implicit-def: $vgpr22_vgpr23
                                        ; implicit-def: $vgpr46_vgpr47
                                        ; implicit-def: $vgpr10_vgpr11
	s_xor_b32 exec_lo, exec_lo, s1
	s_cbranch_execz .LBB0_15
; %bb.12:
	s_add_u32 s4, s16, s4
	s_addc_u32 s5, s17, s5
	s_load_dwordx2 s[4:5], s[4:5], 0x0
	s_waitcnt lgkmcnt(0)
	v_mul_lo_u32 v6, s5, v87
	v_mul_lo_u32 v7, s4, v88
	v_mad_u64_u32 v[2:3], null, s4, v87, 0
	s_mov_b32 s4, exec_lo
	v_add3_u32 v3, v3, v7, v6
	v_mul_u32_u24_e32 v6, 0xb0, v1
	v_lshlrev_b64 v[1:2], 4, v[2:3]
	v_lshlrev_b64 v[3:4], 4, v[4:5]
	v_sub_nc_u32_e32 v90, v0, v6
	v_add_co_u32 v0, s0, s8, v1
	v_add_co_ci_u32_e64 v1, s0, s9, v2, s0
	v_lshlrev_b32_e32 v2, 4, v90
	v_add_co_u32 v0, s0, v0, v3
	v_add_co_ci_u32_e64 v1, s0, v1, v4, s0
	v_add_co_u32 v26, s0, v0, v2
	v_add_co_ci_u32_e64 v27, s0, 0, v1, s0
	;; [unrolled: 2-line block ×10, first 2 shown]
	s_clause 0x3
	global_load_dwordx4 v[8:11], v[26:27], off
	global_load_dwordx4 v[40:43], v[0:1], off offset:1152
	global_load_dwordx4 v[4:7], v[2:3], off offset:768
	global_load_dwordx4 v[44:47], v[12:13], off offset:1920
	v_add_co_u32 v0, s0, 0x6800, v26
	v_add_co_ci_u32_e64 v1, s0, 0, v27, s0
	s_clause 0x5
	global_load_dwordx4 v[20:23], v[14:15], off offset:1536
	global_load_dwordx4 v[32:35], v[16:17], off offset:640
	;; [unrolled: 1-line block ×6, first 2 shown]
                                        ; implicit-def: $vgpr36_vgpr37
                                        ; implicit-def: $vgpr24_vgpr25
	v_cmpx_gt_u32_e32 0x58, v90
; %bb.13:
	v_add_co_u32 v24, s0, 0x3000, v26
	v_add_co_ci_u32_e64 v25, s0, 0, v27, s0
	v_add_co_u32 v36, s0, 0x7000, v26
	v_add_co_ci_u32_e64 v37, s0, 0, v27, s0
	s_clause 0x1
	global_load_dwordx4 v[24:27], v[24:25], off offset:1792
	global_load_dwordx4 v[36:39], v[36:37], off offset:896
; %bb.14:
	s_or_b32 exec_lo, exec_lo, s4
	v_mov_b32_e32 v86, v90
.LBB0_15:
	s_or_b32 exec_lo, exec_lo, s1
	s_waitcnt vmcnt(2)
	v_add_f64 v[28:29], v[12:13], -v[28:29]
	v_add_f64 v[30:31], v[14:15], -v[30:31]
	s_waitcnt vmcnt(0)
	v_add_f64 v[50:51], v[16:17], -v[0:1]
	v_add_f64 v[52:53], v[18:19], -v[2:3]
	;; [unrolled: 1-line block ×10, first 2 shown]
	v_add_nc_u32_e32 v61, 0xb0, v90
	v_add_nc_u32_e32 v60, 0x160, v90
	;; [unrolled: 1-line block ×5, first 2 shown]
	v_cmp_gt_u32_e64 s0, 0x58, v90
	v_fma_f64 v[55:56], v[12:13], 2.0, -v[28:29]
	v_fma_f64 v[57:58], v[14:15], 2.0, -v[30:31]
	v_fma_f64 v[16:17], v[16:17], 2.0, -v[50:51]
	v_fma_f64 v[18:19], v[18:19], 2.0, -v[52:53]
	v_fma_f64 v[12:13], v[24:25], 2.0, -v[0:1]
	v_fma_f64 v[14:15], v[26:27], 2.0, -v[2:3]
	v_fma_f64 v[8:9], v[8:9], 2.0, -v[40:41]
	v_fma_f64 v[10:11], v[10:11], 2.0, -v[42:43]
	v_fma_f64 v[36:37], v[4:5], 2.0, -v[44:45]
	v_fma_f64 v[38:39], v[6:7], 2.0, -v[46:47]
	v_fma_f64 v[20:21], v[20:21], 2.0, -v[32:33]
	v_fma_f64 v[22:23], v[22:23], 2.0, -v[34:35]
	v_lshl_add_u32 v4, v90, 5, 0
	v_lshl_add_u32 v5, v61, 5, 0
	;; [unrolled: 1-line block ×5, first 2 shown]
	ds_write_b128 v4, v[40:43] offset:16
	ds_write_b128 v5, v[44:47] offset:16
	;; [unrolled: 1-line block ×4, first 2 shown]
	ds_write_b128 v4, v[8:11]
	ds_write_b128 v5, v[36:39]
	;; [unrolled: 1-line block ×5, first 2 shown]
	ds_write_b128 v24, v[50:53] offset:16
	s_and_saveexec_b32 s1, s0
	s_cbranch_execz .LBB0_17
; %bb.16:
	v_lshl_add_u32 v5, v48, 5, 0
	ds_write_b128 v5, v[12:15]
	ds_write_b128 v5, v[0:3] offset:16
.LBB0_17:
	s_or_b32 exec_lo, exec_lo, s1
	v_lshlrev_b32_e32 v5, 4, v90
	s_waitcnt lgkmcnt(0)
	s_barrier
	buffer_gl0_inv
	v_lshlrev_b32_e32 v53, 1, v90
	v_sub_nc_u32_e32 v89, v4, v5
	v_lshlrev_b32_e32 v52, 1, v61
	v_lshlrev_b32_e32 v51, 1, v60
	;; [unrolled: 1-line block ×4, first 2 shown]
	ds_read_b128 v[4:7], v89
	ds_read_b128 v[16:19], v89 offset:2816
	ds_read_b128 v[8:11], v89 offset:18304
	;; [unrolled: 1-line block ×9, first 2 shown]
	s_and_saveexec_b32 s1, s0
	s_cbranch_execz .LBB0_19
; %bb.18:
	ds_read_b128 v[12:15], v89 offset:14080
	ds_read_b128 v[0:3], v89 offset:29568
.LBB0_19:
	s_or_b32 exec_lo, exec_lo, s1
	v_and_b32_e32 v54, 1, v90
	v_lshlrev_b32_e32 v55, 4, v54
	v_and_or_b32 v53, 0x1fc, v53, v54
	v_and_or_b32 v52, 0x3fc, v52, v54
	global_load_dwordx4 v[55:58], v55, s[12:13]
	s_waitcnt vmcnt(0) lgkmcnt(0)
	s_barrier
	buffer_gl0_inv
	v_mul_f64 v[62:63], v[46:47], v[57:58]
	v_mul_f64 v[64:65], v[44:45], v[57:58]
	;; [unrolled: 1-line block ×12, first 2 shown]
	v_fma_f64 v[44:45], v[44:45], v[55:56], -v[62:63]
	v_fma_f64 v[46:47], v[46:47], v[55:56], v[64:65]
	v_fma_f64 v[8:9], v[8:9], v[55:56], -v[66:67]
	v_fma_f64 v[10:11], v[10:11], v[55:56], v[68:69]
	;; [unrolled: 2-line block ×6, first 2 shown]
	v_add_f64 v[32:33], v[4:5], -v[44:45]
	v_add_f64 v[34:35], v[6:7], -v[46:47]
	;; [unrolled: 1-line block ×12, first 2 shown]
	v_fma_f64 v[55:56], v[4:5], 2.0, -v[32:33]
	v_fma_f64 v[57:58], v[6:7], 2.0, -v[34:35]
	;; [unrolled: 1-line block ×12, first 2 shown]
	v_and_or_b32 v28, 0x7fc, v51, v54
	v_and_or_b32 v29, 0x7fc, v50, v54
	;; [unrolled: 1-line block ×3, first 2 shown]
	v_lshl_add_u32 v31, v53, 4, 0
	v_lshl_add_u32 v49, v52, 4, 0
	;; [unrolled: 1-line block ×5, first 2 shown]
	ds_write_b128 v31, v[32:35] offset:32
	ds_write_b128 v31, v[55:58]
	ds_write_b128 v49, v[16:19]
	ds_write_b128 v49, v[36:39] offset:32
	ds_write_b128 v28, v[24:27]
	ds_write_b128 v28, v[40:43] offset:32
	;; [unrolled: 2-line block ×4, first 2 shown]
	s_and_saveexec_b32 s1, s0
	s_cbranch_execz .LBB0_21
; %bb.20:
	v_lshlrev_b32_e32 v16, 1, v48
	v_and_or_b32 v16, 0x7fc, v16, v54
	v_lshl_add_u32 v16, v16, 4, 0
	ds_write_b128 v16, v[12:15]
	ds_write_b128 v16, v[8:11] offset:32
.LBB0_21:
	s_or_b32 exec_lo, exec_lo, s1
	s_waitcnt lgkmcnt(0)
	s_barrier
	buffer_gl0_inv
	ds_read_b128 v[16:19], v89
	ds_read_b128 v[20:23], v89 offset:2816
	ds_read_b128 v[48:51], v89 offset:7744
	;; [unrolled: 1-line block ×7, first 2 shown]
	v_cmp_gt_u32_e64 s0, 0x84, v90
	s_and_saveexec_b32 s1, s0
	s_cbranch_execz .LBB0_23
; %bb.22:
	ds_read_b128 v[4:7], v89 offset:5632
	ds_read_b128 v[0:3], v89 offset:13376
	;; [unrolled: 1-line block ×4, first 2 shown]
.LBB0_23:
	s_or_b32 exec_lo, exec_lo, s1
	v_and_b32_e32 v62, 3, v90
	v_lshlrev_b32_e32 v61, 2, v61
	v_mul_u32_u24_e32 v24, 3, v62
	v_and_or_b32 v61, 0x7f0, v61, v62
	v_lshlrev_b32_e32 v24, 4, v24
	v_lshl_add_u32 v61, v61, 4, 0
	s_clause 0x2
	global_load_dwordx4 v[32:35], v24, s[12:13] offset:32
	global_load_dwordx4 v[28:31], v24, s[12:13] offset:48
	;; [unrolled: 1-line block ×3, first 2 shown]
	s_waitcnt vmcnt(0) lgkmcnt(0)
	s_barrier
	buffer_gl0_inv
	v_mul_f64 v[63:64], v[50:51], v[34:35]
	v_mul_f64 v[65:66], v[48:49], v[34:35]
	;; [unrolled: 1-line block ×12, first 2 shown]
	v_fma_f64 v[48:49], v[48:49], v[32:33], -v[63:64]
	v_fma_f64 v[50:51], v[50:51], v[32:33], v[65:66]
	v_fma_f64 v[52:53], v[52:53], v[28:29], -v[67:68]
	v_fma_f64 v[54:55], v[54:55], v[28:29], v[69:70]
	;; [unrolled: 2-line block ×6, first 2 shown]
	v_add_f64 v[52:53], v[16:17], -v[52:53]
	v_add_f64 v[54:55], v[18:19], -v[54:55]
	;; [unrolled: 1-line block ×8, first 2 shown]
	v_fma_f64 v[67:68], v[16:17], 2.0, -v[52:53]
	v_fma_f64 v[69:70], v[18:19], 2.0, -v[54:55]
	;; [unrolled: 1-line block ×4, first 2 shown]
	v_add_f64 v[16:17], v[52:53], -v[58:59]
	v_add_f64 v[18:19], v[54:55], v[56:57]
	v_fma_f64 v[50:51], v[20:21], 2.0, -v[63:64]
	v_fma_f64 v[71:72], v[22:23], 2.0, -v[65:66]
	;; [unrolled: 1-line block ×4, first 2 shown]
	v_add_f64 v[20:21], v[63:64], -v[40:41]
	v_add_f64 v[36:37], v[67:68], -v[42:43]
	v_add_f64 v[38:39], v[69:70], -v[46:47]
	v_fma_f64 v[46:47], v[54:55], 2.0, -v[18:19]
	v_add_f64 v[40:41], v[50:51], -v[22:23]
	v_add_f64 v[42:43], v[71:72], -v[48:49]
	v_add_f64 v[22:23], v[65:66], v[44:45]
	v_fma_f64 v[44:45], v[52:53], 2.0, -v[16:17]
	v_fma_f64 v[48:49], v[63:64], 2.0, -v[20:21]
	v_lshlrev_b32_e32 v63, 2, v90
	v_and_or_b32 v63, 0x3f0, v63, v62
	v_lshl_add_u32 v63, v63, 4, 0
	v_fma_f64 v[52:53], v[67:68], 2.0, -v[36:37]
	v_fma_f64 v[54:55], v[69:70], 2.0, -v[38:39]
	;; [unrolled: 1-line block ×5, first 2 shown]
	ds_write_b128 v63, v[16:19] offset:192
	ds_write_b128 v63, v[44:47] offset:64
	;; [unrolled: 1-line block ×3, first 2 shown]
	ds_write_b128 v63, v[52:55]
	ds_write_b128 v61, v[56:59]
	ds_write_b128 v61, v[48:51] offset:64
	ds_write_b128 v61, v[40:43] offset:128
	;; [unrolled: 1-line block ×3, first 2 shown]
	s_and_saveexec_b32 s1, s0
	s_cbranch_execz .LBB0_25
; %bb.24:
	v_mul_f64 v[16:17], v[12:13], v[30:31]
	v_mul_f64 v[18:19], v[2:3], v[34:35]
	;; [unrolled: 1-line block ×6, first 2 shown]
	v_fma_f64 v[14:15], v[14:15], v[28:29], v[16:17]
	v_fma_f64 v[0:1], v[0:1], v[32:33], -v[18:19]
	v_fma_f64 v[2:3], v[2:3], v[32:33], v[20:21]
	v_fma_f64 v[10:11], v[10:11], v[24:25], v[22:23]
	v_fma_f64 v[12:13], v[12:13], v[28:29], -v[30:31]
	v_fma_f64 v[8:9], v[8:9], v[24:25], -v[26:27]
	v_add_f64 v[14:15], v[6:7], -v[14:15]
	v_add_f64 v[10:11], v[2:3], -v[10:11]
	;; [unrolled: 1-line block ×4, first 2 shown]
	v_fma_f64 v[16:17], v[6:7], 2.0, -v[14:15]
	v_fma_f64 v[6:7], v[2:3], 2.0, -v[10:11]
	;; [unrolled: 1-line block ×4, first 2 shown]
	v_add_f64 v[2:3], v[14:15], v[8:9]
	v_add_f64 v[0:1], v[12:13], -v[10:11]
	v_add_f64 v[6:7], v[16:17], -v[6:7]
	;; [unrolled: 1-line block ×3, first 2 shown]
	v_fma_f64 v[10:11], v[14:15], 2.0, -v[2:3]
	v_fma_f64 v[8:9], v[12:13], 2.0, -v[0:1]
	;; [unrolled: 1-line block ×3, first 2 shown]
	v_lshlrev_b32_e32 v16, 2, v60
	v_fma_f64 v[12:13], v[18:19], 2.0, -v[4:5]
	v_and_or_b32 v16, 0xff0, v16, v62
	v_lshl_add_u32 v16, v16, 4, 0
	ds_write_b128 v16, v[8:11] offset:64
	ds_write_b128 v16, v[4:7] offset:128
	ds_write_b128 v16, v[12:15]
	ds_write_b128 v16, v[0:3] offset:192
.LBB0_25:
	s_or_b32 exec_lo, exec_lo, s1
	v_and_b32_e32 v92, 15, v90
	s_waitcnt lgkmcnt(0)
	s_barrier
	buffer_gl0_inv
	v_lshl_add_u32 v91, v90, 4, 0
	v_mul_u32_u24_e32 v0, 10, v92
	s_mov_b32 s0, 0xf8bb580b
	s_mov_b32 s1, 0xbfe14ced
	;; [unrolled: 1-line block ×4, first 2 shown]
	v_lshlrev_b32_e32 v0, 4, v0
	s_mov_b32 s16, 0x43842ef
	s_mov_b32 s17, 0xbfefac9e
	;; [unrolled: 1-line block ×4, first 2 shown]
	s_clause 0x9
	global_load_dwordx4 v[36:39], v0, s[12:13] offset:224
	global_load_dwordx4 v[48:51], v0, s[12:13] offset:368
	;; [unrolled: 1-line block ×10, first 2 shown]
	ds_read_b128 v[60:63], v89 offset:5632
	ds_read_b128 v[64:67], v89 offset:8448
	;; [unrolled: 1-line block ×3, first 2 shown]
	ds_read_b128 v[0:3], v89
	ds_read_b128 v[76:79], v89 offset:28160
	ds_read_b128 v[68:71], v89 offset:25344
	ds_read_b128 v[24:27], v89 offset:11264
	ds_read_b128 v[20:23], v89 offset:16896
	ds_read_b128 v[28:31], v89 offset:19712
	ds_read_b128 v[80:83], v89 offset:22528
	ds_read_b128 v[32:35], v91 offset:14080
	s_mov_b32 s22, 0xfd768dbf
	s_mov_b32 s23, 0xbfd207e7
	;; [unrolled: 1-line block ×20, first 2 shown]
	s_waitcnt vmcnt(0) lgkmcnt(0)
	s_barrier
	buffer_gl0_inv
	v_mul_f64 v[93:94], v[74:75], v[38:39]
	v_mul_f64 v[38:39], v[72:73], v[38:39]
	;; [unrolled: 1-line block ×20, first 2 shown]
	v_fma_f64 v[72:73], v[72:73], v[36:37], -v[93:94]
	v_fma_f64 v[74:75], v[74:75], v[36:37], v[38:39]
	v_fma_f64 v[6:7], v[78:79], v[48:49], v[95:96]
	v_fma_f64 v[10:11], v[76:77], v[48:49], -v[50:51]
	v_fma_f64 v[48:49], v[60:61], v[44:45], -v[97:98]
	v_fma_f64 v[44:45], v[62:63], v[44:45], v[46:47]
	v_lshrrev_b32_e32 v46, 4, v90
	v_fma_f64 v[14:15], v[70:71], v[56:57], v[105:106]
	v_fma_f64 v[38:39], v[26:27], v[4:5], v[103:104]
	v_fma_f64 v[4:5], v[24:25], v[4:5], -v[111:112]
	v_fma_f64 v[22:23], v[22:23], v[8:9], v[121:122]
	v_mul_u32_u24_e32 v243, 0xb0, v46
	v_fma_f64 v[42:43], v[64:65], v[40:41], -v[99:100]
	v_fma_f64 v[40:41], v[66:67], v[40:41], v[101:102]
	v_fma_f64 v[26:27], v[82:83], v[52:53], v[107:108]
	v_fma_f64 v[36:37], v[80:81], v[52:53], -v[54:55]
	v_fma_f64 v[8:9], v[20:21], v[8:9], -v[119:120]
	;; [unrolled: 1-line block ×3, first 2 shown]
	v_fma_f64 v[30:31], v[30:31], v[16:17], v[109:110]
	v_fma_f64 v[16:17], v[28:29], v[16:17], -v[115:116]
	v_fma_f64 v[24:25], v[32:33], v[12:13], -v[113:114]
	v_fma_f64 v[12:13], v[34:35], v[12:13], v[117:118]
	v_add_f64 v[46:47], v[0:1], v[72:73]
	v_add_f64 v[60:61], v[2:3], v[74:75]
	v_add_f64 v[20:21], v[74:75], -v[6:7]
	v_add_f64 v[28:29], v[72:73], -v[10:11]
	v_add_f64 v[32:33], v[72:73], v[10:11]
	v_add_f64 v[34:35], v[74:75], v[6:7]
	v_add_f64 v[50:51], v[44:45], -v[14:15]
	v_add_f64 v[64:65], v[44:45], v[14:15]
	v_add_f64 v[54:55], v[40:41], -v[26:27]
	v_add_f64 v[56:57], v[42:43], -v[36:37]
	v_add_f64 v[66:67], v[42:43], v[36:37]
	v_add_f64 v[68:69], v[40:41], v[26:27]
	v_add_f64 v[52:53], v[48:49], -v[18:19]
	v_add_f64 v[58:59], v[38:39], -v[30:31]
	v_add_f64 v[72:73], v[4:5], -v[16:17]
	v_add_f64 v[76:77], v[12:13], -v[22:23]
	v_add_f64 v[46:47], v[46:47], v[48:49]
	v_add_f64 v[44:45], v[60:61], v[44:45]
	v_mul_f64 v[93:94], v[20:21], s[0:1]
	v_mul_f64 v[95:96], v[28:29], s[0:1]
	v_add_f64 v[80:81], v[24:25], -v[8:9]
	v_mul_f64 v[97:98], v[20:21], s[8:9]
	v_mul_f64 v[99:100], v[28:29], s[8:9]
	;; [unrolled: 1-line block ×8, first 2 shown]
	v_add_f64 v[70:71], v[4:5], v[16:17]
	v_add_f64 v[74:75], v[38:39], v[30:31]
	;; [unrolled: 1-line block ×3, first 2 shown]
	v_mul_f64 v[109:110], v[50:51], s[8:9]
	v_add_f64 v[78:79], v[24:25], v[8:9]
	v_mul_f64 v[111:112], v[52:53], s[8:9]
	v_add_f64 v[82:83], v[12:13], v[22:23]
	v_mul_f64 v[113:114], v[54:55], s[16:17]
	v_mul_f64 v[115:116], v[56:57], s[16:17]
	v_add_f64 v[42:43], v[46:47], v[42:43]
	v_add_f64 v[40:41], v[44:45], v[40:41]
	v_fma_f64 v[169:170], v[32:33], s[4:5], -v[93:94]
	v_fma_f64 v[171:172], v[34:35], s[4:5], v[95:96]
	v_mul_f64 v[117:118], v[58:59], s[20:21]
	v_mul_f64 v[48:49], v[50:51], s[20:21]
	;; [unrolled: 1-line block ×18, first 2 shown]
	v_add_f64 v[4:5], v[42:43], v[4:5]
	v_add_f64 v[38:39], v[40:41], v[38:39]
	v_mul_f64 v[141:142], v[58:59], s[0:1]
	v_mul_f64 v[143:144], v[58:59], s[22:23]
	;; [unrolled: 1-line block ×18, first 2 shown]
	v_fma_f64 v[93:94], v[32:33], s[4:5], v[93:94]
	v_fma_f64 v[95:96], v[34:35], s[4:5], -v[95:96]
	v_fma_f64 v[173:174], v[32:33], s[6:7], -v[97:98]
	v_fma_f64 v[175:176], v[34:35], s[6:7], v[99:100]
	v_fma_f64 v[97:98], v[32:33], s[6:7], v[97:98]
	v_fma_f64 v[177:178], v[32:33], s[14:15], -v[101:102]
	v_fma_f64 v[179:180], v[34:35], s[14:15], v[103:104]
	v_fma_f64 v[101:102], v[32:33], s[14:15], v[101:102]
	v_fma_f64 v[181:182], v[32:33], s[18:19], -v[105:106]
	v_fma_f64 v[183:184], v[34:35], s[18:19], v[107:108]
	v_fma_f64 v[185:186], v[32:33], s[24:25], -v[20:21]
	v_fma_f64 v[187:188], v[34:35], s[24:25], v[28:29]
	v_fma_f64 v[105:106], v[32:33], s[18:19], v[105:106]
	;; [unrolled: 1-line block ×3, first 2 shown]
	v_fma_f64 v[28:29], v[34:35], s[24:25], -v[28:29]
	v_fma_f64 v[107:108], v[34:35], s[18:19], -v[107:108]
	;; [unrolled: 1-line block ×4, first 2 shown]
	v_add_f64 v[4:5], v[4:5], v[24:25]
	v_add_f64 v[12:13], v[38:39], v[12:13]
	v_fma_f64 v[32:33], v[62:63], s[6:7], -v[109:110]
	v_fma_f64 v[34:35], v[64:65], s[6:7], v[111:112]
	v_add_f64 v[24:25], v[0:1], v[169:170]
	v_add_f64 v[38:39], v[2:3], v[171:172]
	v_fma_f64 v[189:190], v[66:67], s[14:15], -v[113:114]
	v_fma_f64 v[191:192], v[68:69], s[14:15], v[115:116]
	v_fma_f64 v[193:194], v[70:71], s[18:19], -v[117:118]
	v_fma_f64 v[44:45], v[62:63], s[6:7], v[109:110]
	;; [unrolled: 2-line block ×24, first 2 shown]
	v_fma_f64 v[70:71], v[74:75], s[18:19], v[145:146]
	v_fma_f64 v[145:146], v[74:75], s[18:19], -v[145:146]
	v_fma_f64 v[223:224], v[74:75], s[14:15], v[147:148]
	v_fma_f64 v[147:148], v[74:75], s[14:15], -v[147:148]
	;; [unrolled: 2-line block ×5, first 2 shown]
	v_fma_f64 v[40:41], v[78:79], s[24:25], -v[153:154]
	v_fma_f64 v[42:43], v[78:79], s[24:25], v[153:154]
	v_fma_f64 v[74:75], v[78:79], s[4:5], -v[155:156]
	v_fma_f64 v[153:154], v[78:79], s[4:5], v[155:156]
	;; [unrolled: 2-line block ×5, first 2 shown]
	v_fma_f64 v[78:79], v[82:83], s[24:25], v[161:162]
	v_fma_f64 v[161:162], v[82:83], s[24:25], -v[161:162]
	v_fma_f64 v[235:236], v[82:83], s[4:5], v[163:164]
	v_fma_f64 v[163:164], v[82:83], s[4:5], -v[163:164]
	;; [unrolled: 2-line block ×5, first 2 shown]
	v_add_f64 v[82:83], v[0:1], v[93:94]
	v_add_f64 v[93:94], v[2:3], v[95:96]
	;; [unrolled: 1-line block ×108, first 2 shown]
	v_or_b32_e32 v8, v243, v92
	v_lshl_add_u32 v8, v8, 4, 0
	ds_write_b128 v8, v[0:3] offset:256
	ds_write_b128 v8, v[16:19] offset:512
	ds_write_b128 v8, v[24:27] offset:768
	ds_write_b128 v8, v[32:35] offset:1024
	ds_write_b128 v8, v[40:43] offset:1280
	ds_write_b128 v8, v[44:47] offset:1536
	ds_write_b128 v8, v[36:39] offset:1792
	ds_write_b128 v8, v[28:31] offset:2048
	ds_write_b128 v8, v[20:23] offset:2304
	ds_write_b128 v8, v[12:15] offset:2560
	ds_write_b128 v8, v[4:7]
	s_waitcnt lgkmcnt(0)
	s_barrier
	buffer_gl0_inv
	s_and_saveexec_b32 s33, vcc_lo
	s_cbranch_execz .LBB0_27
; %bb.26:
	v_mul_u32_u24_e32 v0, 10, v90
	v_mul_lo_u32 v44, s3, v87
	v_mul_lo_u32 v45, s2, v88
	v_mad_u64_u32 v[60:61], null, s2, v87, 0
	v_lshlrev_b32_e32 v0, 4, v0
	v_mov_b32_e32 v87, 0
	v_lshlrev_b64 v[70:71], 4, v[84:85]
	s_mov_b32 s3, 0x3fe82f19
	s_mov_b32 s2, s20
	v_add_co_u32 v18, s12, s12, v0
	v_add_co_ci_u32_e64 v19, null, s13, 0, s12
	v_add3_u32 v61, v61, v45, v44
	v_add_co_u32 v16, vcc_lo, 0xb20, v18
	v_add_co_ci_u32_e32 v17, vcc_lo, 0, v19, vcc_lo
	v_add_co_u32 v28, vcc_lo, 0x800, v18
	v_add_co_ci_u32_e32 v29, vcc_lo, 0, v19, vcc_lo
	;; [unrolled: 2-line block ×4, first 2 shown]
	s_clause 0x9
	global_load_dwordx4 v[8:11], v[28:29], off offset:800
	global_load_dwordx4 v[0:3], v[16:17], off offset:32
	;; [unrolled: 1-line block ×10, first 2 shown]
	v_lshlrev_b64 v[68:69], 4, v[60:61]
	v_lshlrev_b64 v[76:77], 4, v[86:87]
	ds_read_b128 v[40:43], v91 offset:14080
	ds_read_b128 v[44:47], v89 offset:16896
	;; [unrolled: 1-line block ×7, first 2 shown]
	v_add_co_u32 v68, vcc_lo, s10, v68
	v_add_co_ci_u32_e32 v69, vcc_lo, s11, v69, vcc_lo
	v_add_co_u32 v78, vcc_lo, v68, v70
	v_add_co_ci_u32_e32 v79, vcc_lo, v69, v71, vcc_lo
	ds_read_b128 v[68:71], v89
	ds_read_b128 v[72:75], v89 offset:2816
	v_add_co_u32 v84, vcc_lo, v78, v76
	v_add_co_ci_u32_e32 v85, vcc_lo, v79, v77, vcc_lo
	ds_read_b128 v[76:79], v89 offset:25344
	ds_read_b128 v[80:83], v89 offset:28160
	v_add_co_u32 v86, vcc_lo, 0x800, v84
	v_add_co_ci_u32_e32 v87, vcc_lo, 0, v85, vcc_lo
	v_add_co_u32 v88, vcc_lo, 0x1000, v84
	v_add_co_ci_u32_e32 v89, vcc_lo, 0, v85, vcc_lo
	;; [unrolled: 2-line block ×5, first 2 shown]
	s_waitcnt vmcnt(5) lgkmcnt(5)
	v_mul_f64 v[102:103], v[20:21], v[62:63]
	v_mul_f64 v[94:95], v[8:9], v[42:43]
	;; [unrolled: 1-line block ×5, first 2 shown]
	s_waitcnt vmcnt(1) lgkmcnt(2)
	v_mul_f64 v[110:111], v[28:29], v[74:75]
	s_waitcnt vmcnt(0) lgkmcnt(0)
	v_mul_f64 v[112:113], v[36:37], v[82:83]
	v_mul_f64 v[74:75], v[30:31], v[74:75]
	;; [unrolled: 1-line block ×14, first 2 shown]
	v_fma_f64 v[22:23], v[22:23], v[60:61], v[102:103]
	v_fma_f64 v[10:11], v[10:11], v[40:41], v[94:95]
	v_fma_f64 v[8:9], v[40:41], v[8:9], -v[42:43]
	v_fma_f64 v[6:7], v[6:7], v[44:45], v[96:97]
	v_fma_f64 v[4:5], v[44:45], v[4:5], -v[46:47]
	v_fma_f64 v[30:31], v[30:31], v[72:73], v[110:111]
	v_fma_f64 v[40:41], v[38:39], v[80:81], v[112:113]
	v_fma_f64 v[28:29], v[72:73], v[28:29], -v[74:75]
	v_fma_f64 v[44:45], v[80:81], v[36:37], -v[82:83]
	v_fma_f64 v[2:3], v[2:3], v[52:53], v[100:101]
	v_fma_f64 v[26:27], v[26:27], v[64:65], v[106:107]
	;; [unrolled: 1-line block ×3, first 2 shown]
	v_fma_f64 v[0:1], v[52:53], v[0:1], -v[54:55]
	v_fma_f64 v[20:21], v[60:61], v[20:21], -v[62:63]
	;; [unrolled: 1-line block ×4, first 2 shown]
	v_fma_f64 v[14:15], v[14:15], v[48:49], v[98:99]
	v_fma_f64 v[12:13], v[48:49], v[12:13], -v[50:51]
	v_fma_f64 v[18:19], v[18:19], v[56:57], v[104:105]
	v_fma_f64 v[16:17], v[56:57], v[16:17], -v[58:59]
	v_add_co_u32 v46, vcc_lo, 0x4000, v84
	v_add_co_ci_u32_e32 v47, vcc_lo, 0, v85, vcc_lo
	v_add_co_u32 v48, vcc_lo, 0x4800, v84
	v_add_f64 v[36:37], v[10:11], v[6:7]
	v_add_f64 v[54:55], v[10:11], -v[6:7]
	v_add_f64 v[52:53], v[30:31], v[40:41]
	v_add_f64 v[62:63], v[30:31], -v[40:41]
	v_add_f64 v[76:77], v[28:29], -v[44:45]
	v_add_f64 v[96:97], v[28:29], v[44:45]
	v_add_f64 v[30:31], v[70:71], v[30:31]
	;; [unrolled: 1-line block ×4, first 2 shown]
	v_add_f64 v[60:61], v[26:27], -v[34:35]
	v_add_f64 v[64:65], v[8:9], -v[4:5]
	;; [unrolled: 1-line block ×3, first 2 shown]
	v_add_f64 v[94:95], v[24:25], v[32:33]
	v_add_f64 v[38:39], v[14:15], v[2:3]
	;; [unrolled: 1-line block ×3, first 2 shown]
	v_add_f64 v[58:59], v[22:23], -v[18:19]
	v_add_f64 v[72:73], v[20:21], -v[16:17]
	v_add_f64 v[82:83], v[20:21], v[16:17]
	v_add_f64 v[56:57], v[14:15], -v[2:3]
	v_add_f64 v[66:67], v[12:13], -v[0:1]
	v_add_f64 v[80:81], v[12:13], v[0:1]
	v_add_f64 v[78:79], v[8:9], v[4:5]
	v_mul_f64 v[98:99], v[36:37], s[14:15]
	v_mul_f64 v[120:121], v[36:37], s[6:7]
	;; [unrolled: 1-line block ×6, first 2 shown]
	v_add_f64 v[26:27], v[26:27], v[30:31]
	v_add_f64 v[24:25], v[24:25], v[28:29]
	v_mul_f64 v[104:105], v[50:51], s[4:5]
	v_mul_f64 v[126:127], v[50:51], s[14:15]
	;; [unrolled: 1-line block ×20, first 2 shown]
	v_add_f64 v[22:23], v[22:23], v[26:27]
	v_add_f64 v[20:21], v[20:21], v[24:25]
	v_mul_f64 v[108:109], v[54:55], s[16:17]
	v_mul_f64 v[110:111], v[56:57], s[34:35]
	;; [unrolled: 1-line block ×20, first 2 shown]
	v_add_f64 v[14:15], v[14:15], v[22:23]
	v_add_f64 v[12:13], v[12:13], v[20:21]
	v_mul_f64 v[54:55], v[54:55], s[22:23]
	v_mul_f64 v[56:57], v[56:57], s[20:21]
	;; [unrolled: 1-line block ×4, first 2 shown]
	v_fma_f64 v[28:29], v[64:65], s[26:27], v[98:99]
	v_fma_f64 v[30:31], v[66:67], s[8:9], v[100:101]
	;; [unrolled: 1-line block ×9, first 2 shown]
	v_fma_f64 v[118:119], v[96:97], s[24:25], -v[118:119]
	v_fma_f64 v[196:197], v[64:65], s[8:9], v[120:121]
	v_fma_f64 v[198:199], v[66:67], s[28:29], v[122:123]
	;; [unrolled: 1-line block ×9, first 2 shown]
	v_fma_f64 v[138:139], v[96:97], s[18:19], -v[138:139]
	v_fma_f64 v[216:217], v[64:65], s[2:3], v[140:141]
	v_fma_f64 v[218:219], v[66:67], s[30:31], v[142:143]
	;; [unrolled: 1-line block ×22, first 2 shown]
	v_fma_f64 v[62:63], v[96:97], s[4:5], -v[62:63]
	v_fma_f64 v[240:241], v[76:77], s[34:35], v[168:169]
	v_fma_f64 v[250:251], v[96:97], s[6:7], v[178:179]
	;; [unrolled: 1-line block ×3, first 2 shown]
	v_fma_f64 v[178:179], v[96:97], s[6:7], -v[178:179]
	v_fma_f64 v[234:235], v[96:97], s[14:15], v[158:159]
	v_fma_f64 v[148:149], v[76:77], s[16:17], v[148:149]
	v_fma_f64 v[158:159], v[96:97], s[14:15], -v[158:159]
	v_add_f64 v[10:11], v[10:11], v[14:15]
	v_add_f64 v[8:9], v[8:9], v[12:13]
	v_fma_f64 v[180:181], v[72:73], s[2:3], v[102:103]
	v_fma_f64 v[186:187], v[78:79], s[14:15], v[108:109]
	v_fma_f64 v[188:189], v[80:81], s[6:7], v[110:111]
	v_fma_f64 v[190:191], v[82:83], s[18:19], v[112:113]
	v_fma_f64 v[192:193], v[94:95], s[4:5], v[116:117]
	v_fma_f64 v[102:103], v[72:73], s[20:21], v[102:103]
	v_fma_f64 v[108:109], v[78:79], s[14:15], -v[108:109]
	v_fma_f64 v[110:111], v[80:81], s[6:7], -v[110:111]
	v_fma_f64 v[112:113], v[82:83], s[18:19], -v[112:113]
	v_fma_f64 v[116:117], v[94:95], s[4:5], -v[116:117]
	v_fma_f64 v[200:201], v[72:73], s[30:31], v[124:125]
	v_fma_f64 v[206:207], v[78:79], s[6:7], v[130:131]
	v_fma_f64 v[208:209], v[80:81], s[24:25], v[132:133]
	v_fma_f64 v[210:211], v[82:83], s[4:5], v[134:135]
	v_fma_f64 v[212:213], v[94:95], s[14:15], v[136:137]
	v_fma_f64 v[124:125], v[72:73], s[0:1], v[124:125]
	v_fma_f64 v[130:131], v[78:79], s[6:7], -v[130:131]
	v_fma_f64 v[132:133], v[80:81], s[24:25], -v[132:133]
	v_fma_f64 v[134:135], v[82:83], s[4:5], -v[134:135]
	v_fma_f64 v[136:137], v[94:95], s[14:15], -v[136:137]
	;; [unrolled: 10-line block ×4, first 2 shown]
	v_fma_f64 v[22:23], v[72:73], s[26:27], v[42:43]
	v_fma_f64 v[42:43], v[72:73], s[16:17], v[42:43]
	;; [unrolled: 1-line block ×4, first 2 shown]
	v_fma_f64 v[54:55], v[78:79], s[24:25], -v[54:55]
	v_fma_f64 v[78:79], v[82:83], s[14:15], v[58:59]
	v_fma_f64 v[56:57], v[80:81], s[18:19], -v[56:57]
	v_fma_f64 v[80:81], v[94:95], s[6:7], v[60:61]
	v_fma_f64 v[58:59], v[82:83], s[14:15], -v[58:59]
	v_fma_f64 v[60:61], v[94:95], s[6:7], -v[60:61]
	v_add_f64 v[12:13], v[70:71], v[184:185]
	v_add_f64 v[14:15], v[68:69], v[194:195]
	;; [unrolled: 1-line block ×110, first 2 shown]
	v_add_co_ci_u32_e32 v49, vcc_lo, 0, v85, vcc_lo
	v_add_co_u32 v44, vcc_lo, 0x5800, v84
	v_add_co_ci_u32_e32 v45, vcc_lo, 0, v85, vcc_lo
	v_add_co_u32 v50, vcc_lo, 0x6000, v84
	;; [unrolled: 2-line block ×3, first 2 shown]
	v_add_co_ci_u32_e32 v53, vcc_lo, 0, v85, vcc_lo
	global_store_dwordx4 v[86:87], v[28:31], off offset:768
	global_store_dwordx4 v[88:89], v[24:27], off offset:1536
	;; [unrolled: 1-line block ×7, first 2 shown]
	global_store_dwordx4 v[44:45], v[16:19], off
	global_store_dwordx4 v[50:51], v[32:35], off offset:768
	global_store_dwordx4 v[84:85], v[40:43], off
	global_store_dwordx4 v[52:53], v[36:39], off offset:1536
.LBB0_27:
	s_endpgm
	.section	.rodata,"a",@progbits
	.p2align	6, 0x0
	.amdhsa_kernel fft_rtc_fwd_len1936_factors_2_2_4_11_11_wgs_176_tpt_176_dp_op_CI_CI_unitstride_sbrr_dirReg
		.amdhsa_group_segment_fixed_size 0
		.amdhsa_private_segment_fixed_size 0
		.amdhsa_kernarg_size 104
		.amdhsa_user_sgpr_count 6
		.amdhsa_user_sgpr_private_segment_buffer 1
		.amdhsa_user_sgpr_dispatch_ptr 0
		.amdhsa_user_sgpr_queue_ptr 0
		.amdhsa_user_sgpr_kernarg_segment_ptr 1
		.amdhsa_user_sgpr_dispatch_id 0
		.amdhsa_user_sgpr_flat_scratch_init 0
		.amdhsa_user_sgpr_private_segment_size 0
		.amdhsa_wavefront_size32 1
		.amdhsa_uses_dynamic_stack 0
		.amdhsa_system_sgpr_private_segment_wavefront_offset 0
		.amdhsa_system_sgpr_workgroup_id_x 1
		.amdhsa_system_sgpr_workgroup_id_y 0
		.amdhsa_system_sgpr_workgroup_id_z 0
		.amdhsa_system_sgpr_workgroup_info 0
		.amdhsa_system_vgpr_workitem_id 0
		.amdhsa_next_free_vgpr 254
		.amdhsa_next_free_sgpr 36
		.amdhsa_reserve_vcc 1
		.amdhsa_reserve_flat_scratch 0
		.amdhsa_float_round_mode_32 0
		.amdhsa_float_round_mode_16_64 0
		.amdhsa_float_denorm_mode_32 3
		.amdhsa_float_denorm_mode_16_64 3
		.amdhsa_dx10_clamp 1
		.amdhsa_ieee_mode 1
		.amdhsa_fp16_overflow 0
		.amdhsa_workgroup_processor_mode 1
		.amdhsa_memory_ordered 1
		.amdhsa_forward_progress 0
		.amdhsa_shared_vgpr_count 0
		.amdhsa_exception_fp_ieee_invalid_op 0
		.amdhsa_exception_fp_denorm_src 0
		.amdhsa_exception_fp_ieee_div_zero 0
		.amdhsa_exception_fp_ieee_overflow 0
		.amdhsa_exception_fp_ieee_underflow 0
		.amdhsa_exception_fp_ieee_inexact 0
		.amdhsa_exception_int_div_zero 0
	.end_amdhsa_kernel
	.text
.Lfunc_end0:
	.size	fft_rtc_fwd_len1936_factors_2_2_4_11_11_wgs_176_tpt_176_dp_op_CI_CI_unitstride_sbrr_dirReg, .Lfunc_end0-fft_rtc_fwd_len1936_factors_2_2_4_11_11_wgs_176_tpt_176_dp_op_CI_CI_unitstride_sbrr_dirReg
                                        ; -- End function
	.section	.AMDGPU.csdata,"",@progbits
; Kernel info:
; codeLenInByte = 10424
; NumSgprs: 38
; NumVgprs: 254
; ScratchSize: 0
; MemoryBound: 1
; FloatMode: 240
; IeeeMode: 1
; LDSByteSize: 0 bytes/workgroup (compile time only)
; SGPRBlocks: 4
; VGPRBlocks: 31
; NumSGPRsForWavesPerEU: 38
; NumVGPRsForWavesPerEU: 254
; Occupancy: 4
; WaveLimiterHint : 1
; COMPUTE_PGM_RSRC2:SCRATCH_EN: 0
; COMPUTE_PGM_RSRC2:USER_SGPR: 6
; COMPUTE_PGM_RSRC2:TRAP_HANDLER: 0
; COMPUTE_PGM_RSRC2:TGID_X_EN: 1
; COMPUTE_PGM_RSRC2:TGID_Y_EN: 0
; COMPUTE_PGM_RSRC2:TGID_Z_EN: 0
; COMPUTE_PGM_RSRC2:TIDIG_COMP_CNT: 0
	.text
	.p2alignl 6, 3214868480
	.fill 48, 4, 3214868480
	.type	__hip_cuid_d69683d06aff36ee,@object ; @__hip_cuid_d69683d06aff36ee
	.section	.bss,"aw",@nobits
	.globl	__hip_cuid_d69683d06aff36ee
__hip_cuid_d69683d06aff36ee:
	.byte	0                               ; 0x0
	.size	__hip_cuid_d69683d06aff36ee, 1

	.ident	"AMD clang version 19.0.0git (https://github.com/RadeonOpenCompute/llvm-project roc-6.4.0 25133 c7fe45cf4b819c5991fe208aaa96edf142730f1d)"
	.section	".note.GNU-stack","",@progbits
	.addrsig
	.addrsig_sym __hip_cuid_d69683d06aff36ee
	.amdgpu_metadata
---
amdhsa.kernels:
  - .args:
      - .actual_access:  read_only
        .address_space:  global
        .offset:         0
        .size:           8
        .value_kind:     global_buffer
      - .offset:         8
        .size:           8
        .value_kind:     by_value
      - .actual_access:  read_only
        .address_space:  global
        .offset:         16
        .size:           8
        .value_kind:     global_buffer
      - .actual_access:  read_only
        .address_space:  global
        .offset:         24
        .size:           8
        .value_kind:     global_buffer
      - .actual_access:  read_only
        .address_space:  global
        .offset:         32
        .size:           8
        .value_kind:     global_buffer
      - .offset:         40
        .size:           8
        .value_kind:     by_value
      - .actual_access:  read_only
        .address_space:  global
        .offset:         48
        .size:           8
        .value_kind:     global_buffer
      - .actual_access:  read_only
        .address_space:  global
        .offset:         56
        .size:           8
        .value_kind:     global_buffer
      - .offset:         64
        .size:           4
        .value_kind:     by_value
      - .actual_access:  read_only
        .address_space:  global
        .offset:         72
        .size:           8
        .value_kind:     global_buffer
      - .actual_access:  read_only
        .address_space:  global
        .offset:         80
        .size:           8
        .value_kind:     global_buffer
      - .actual_access:  read_only
        .address_space:  global
        .offset:         88
        .size:           8
        .value_kind:     global_buffer
      - .actual_access:  write_only
        .address_space:  global
        .offset:         96
        .size:           8
        .value_kind:     global_buffer
    .group_segment_fixed_size: 0
    .kernarg_segment_align: 8
    .kernarg_segment_size: 104
    .language:       OpenCL C
    .language_version:
      - 2
      - 0
    .max_flat_workgroup_size: 176
    .name:           fft_rtc_fwd_len1936_factors_2_2_4_11_11_wgs_176_tpt_176_dp_op_CI_CI_unitstride_sbrr_dirReg
    .private_segment_fixed_size: 0
    .sgpr_count:     38
    .sgpr_spill_count: 0
    .symbol:         fft_rtc_fwd_len1936_factors_2_2_4_11_11_wgs_176_tpt_176_dp_op_CI_CI_unitstride_sbrr_dirReg.kd
    .uniform_work_group_size: 1
    .uses_dynamic_stack: false
    .vgpr_count:     254
    .vgpr_spill_count: 0
    .wavefront_size: 32
    .workgroup_processor_mode: 1
amdhsa.target:   amdgcn-amd-amdhsa--gfx1030
amdhsa.version:
  - 1
  - 2
...

	.end_amdgpu_metadata
